;; amdgpu-corpus repo=zjin-lcf/HeCBench kind=compiled arch=gfx1250 opt=O3
	.amdgcn_target "amdgcn-amd-amdhsa--gfx1250"
	.amdhsa_code_object_version 6
	.section	.text._Z11flip_kernelIfEvPKT_PS0_lPKllS5_S5_S5_l,"axG",@progbits,_Z11flip_kernelIfEvPKT_PS0_lPKllS5_S5_S5_l,comdat
	.protected	_Z11flip_kernelIfEvPKT_PS0_lPKllS5_S5_S5_l ; -- Begin function _Z11flip_kernelIfEvPKT_PS0_lPKllS5_S5_S5_l
	.globl	_Z11flip_kernelIfEvPKT_PS0_lPKllS5_S5_S5_l
	.p2align	8
	.type	_Z11flip_kernelIfEvPKT_PS0_lPKllS5_S5_S5_l,@function
_Z11flip_kernelIfEvPKT_PS0_lPKllS5_S5_S5_l: ; @_Z11flip_kernelIfEvPKT_PS0_lPKllS5_S5_S5_l
; %bb.0:
	s_load_b32 s2, s[0:1], 0x54
	s_bfe_u32 s20, ttmp6, 0x4000c
	s_load_b512 s[4:19], s[0:1], 0x0
	s_add_co_i32 s20, s20, 1
	s_and_b32 s3, ttmp6, 15
	s_mul_i32 s20, ttmp9, s20
	s_getreg_b32 s21, hwreg(HW_REG_IB_STS2, 6, 4)
	s_add_co_i32 s3, s3, s20
	v_mov_b32_e32 v1, 0
	s_wait_kmcnt 0x0
	s_and_b32 s2, s2, 0xffff
	s_cmp_eq_u32 s21, 0
	s_cselect_b32 s3, ttmp9, s3
	s_delay_alu instid0(SALU_CYCLE_1) | instskip(SKIP_1) | instid1(VALU_DEP_1)
	v_mad_u32 v0, s3, s2, v0
	s_mov_b32 s2, exec_lo
	v_cmpx_gt_i64_e64 s[8:9], v[0:1]
	s_cbranch_execz .LBB0_14
; %bb.1:
	s_load_b64 s[2:3], s[0:1], 0x40
	v_mov_b64_e32 v[2:3], 0
	s_wait_kmcnt 0x0
	v_cmp_lt_i64_e64 s0, s[2:3], 1
	s_and_b32 vcc_lo, exec_lo, s0
	s_cbranch_vccnz .LBB0_13
; %bb.2:
	v_cmp_gt_i64_e64 s33, s[12:13], 0
	v_mov_b64_e32 v[6:7], v[0:1]
	v_mov_b32_e32 v4, 0
	s_mov_b64 s[8:9], 0xffffffff
	s_mov_b64 s[20:21], 0
	s_mov_b32 s1, 0
	s_branch .LBB0_4
.LBB0_3:                                ;   in Loop: Header=BB0_4 Depth=1
	s_add_nc_u64 s[22:23], s[14:15], s[22:23]
	v_mul_u64_e32 v[8:9], s[24:25], v[8:9]
	s_load_b64 s[22:23], s[22:23], 0x0
	s_add_nc_u64 s[20:21], s[20:21], 1
	s_delay_alu instid0(SALU_CYCLE_1) | instskip(SKIP_2) | instid1(VALU_DEP_2)
	s_cmp_eq_u64 s[20:21], s[2:3]
	s_wait_kmcnt 0x0
	v_mad_nc_u64_u32 v[2:3], s22, v10, v[2:3]
	v_sub_nc_u64_e32 v[6:7], v[6:7], v[8:9]
	s_delay_alu instid0(VALU_DEP_2) | instskip(NEXT) | instid1(VALU_DEP_1)
	v_mad_u32 v3, s23, v10, v3
	v_mad_u32 v3, s22, v11, v3
	s_cbranch_scc1 .LBB0_13
.LBB0_4:                                ; =>This Loop Header: Depth=1
                                        ;     Child Loop BB0_11 Depth 2
	s_lshl_b64 s[22:23], s[20:21], 3
                                        ; implicit-def: $vgpr8_vgpr9
	s_mov_b32 s0, exec_lo
	s_add_nc_u64 s[24:25], s[16:17], s[22:23]
	s_load_b64 s[24:25], s[24:25], 0x0
	s_wait_kmcnt 0x0
	v_or_b32_e32 v5, s25, v7
	s_delay_alu instid0(VALU_DEP_1)
	v_cmpx_ne_u64_e32 0, v[4:5]
	s_xor_b32 s30, exec_lo, s0
	s_cbranch_execnz .LBB0_7
; %bb.5:                                ;   in Loop: Header=BB0_4 Depth=1
	s_and_not1_saveexec_b32 s0, s30
	s_cbranch_execnz .LBB0_8
.LBB0_6:                                ;   in Loop: Header=BB0_4 Depth=1
	s_or_b32 exec_lo, exec_lo, s0
	s_delay_alu instid0(VALU_DEP_1)
	v_mov_b64_e32 v[10:11], v[8:9]
	s_and_not1_b32 vcc_lo, exec_lo, s33
	s_cbranch_vccz .LBB0_9
	s_branch .LBB0_3
.LBB0_7:                                ;   in Loop: Header=BB0_4 Depth=1
	s_ashr_i32 s26, s25, 31
	v_dual_mov_b32 v13, v4 :: v_dual_ashrrev_i32 v8, 31, v7
	s_mov_b32 s27, s26
	v_mov_b32_e32 v21, v4
	s_add_nc_u64 s[28:29], s[24:25], s[26:27]
	s_delay_alu instid0(VALU_DEP_2) | instskip(SKIP_1) | instid1(SALU_CYCLE_1)
	v_mov_b32_e32 v9, v8
	s_xor_b64 s[28:29], s[28:29], s[26:27]
	s_cvt_f32_u32 s0, s28
	s_cvt_f32_u32 s27, s29
	s_sub_nc_u64 s[36:37], 0, s[28:29]
	v_add_nc_u64_e32 v[10:11], v[6:7], v[8:9]
	v_mov_b32_e32 v17, v4
	s_fmamk_f32 s0, s27, 0x4f800000, s0
	s_delay_alu instid0(SALU_CYCLE_3) | instskip(NEXT) | instid1(VALU_DEP_2)
	v_s_rcp_f32 s0, s0
	v_xor_b32_e32 v12, v10, v8
	s_delay_alu instid0(VALU_DEP_3) | instskip(NEXT) | instid1(TRANS32_DEP_1)
	v_xor_b32_e32 v16, v11, v8
	s_mul_f32 s0, s0, 0x5f7ffffc
	s_delay_alu instid0(SALU_CYCLE_3) | instskip(NEXT) | instid1(SALU_CYCLE_3)
	s_mul_f32 s27, s0, 0x2f800000
	s_trunc_f32 s27, s27
	s_delay_alu instid0(SALU_CYCLE_3) | instskip(SKIP_1) | instid1(SALU_CYCLE_2)
	s_fmamk_f32 s0, s27, 0xcf800000, s0
	s_cvt_u32_f32 s35, s27
	s_cvt_u32_f32 s34, s0
	s_delay_alu instid0(SALU_CYCLE_3) | instskip(NEXT) | instid1(SALU_CYCLE_1)
	s_mul_u64 s[38:39], s[36:37], s[34:35]
	s_mul_hi_u32 s41, s34, s39
	s_mul_i32 s40, s34, s39
	s_mul_hi_u32 s0, s34, s38
	s_mul_i32 s31, s35, s38
	s_add_nc_u64 s[40:41], s[0:1], s[40:41]
	s_mul_hi_u32 s27, s35, s38
	s_mul_hi_u32 s42, s35, s39
	s_add_co_u32 s0, s40, s31
	s_add_co_ci_u32 s0, s41, s27
	s_mul_i32 s38, s35, s39
	s_add_co_ci_u32 s39, s42, 0
	s_delay_alu instid0(SALU_CYCLE_1) | instskip(NEXT) | instid1(SALU_CYCLE_1)
	s_add_nc_u64 s[38:39], s[0:1], s[38:39]
	s_add_co_u32 s34, s34, s38
	s_cselect_b32 s0, -1, 0
	s_delay_alu instid0(SALU_CYCLE_1) | instskip(SKIP_1) | instid1(SALU_CYCLE_1)
	s_cmp_lg_u32 s0, 0
	s_add_co_ci_u32 s35, s35, s39
	s_mul_u64 s[36:37], s[36:37], s[34:35]
	s_delay_alu instid0(SALU_CYCLE_1)
	s_mul_hi_u32 s39, s34, s37
	s_mul_i32 s38, s34, s37
	s_mul_hi_u32 s0, s34, s36
	s_mul_i32 s31, s35, s36
	s_add_nc_u64 s[38:39], s[0:1], s[38:39]
	s_mul_hi_u32 s27, s35, s36
	s_mul_hi_u32 s40, s35, s37
	s_add_co_u32 s0, s38, s31
	s_add_co_ci_u32 s0, s39, s27
	s_mul_i32 s36, s35, s37
	s_add_co_ci_u32 s37, s40, 0
	s_delay_alu instid0(SALU_CYCLE_1) | instskip(NEXT) | instid1(SALU_CYCLE_1)
	s_add_nc_u64 s[36:37], s[0:1], s[36:37]
	s_add_co_u32 s34, s34, s36
	s_cselect_b32 s0, -1, 0
	v_mul_hi_u32 v20, v12, s34
	s_cmp_lg_u32 s0, 0
	s_add_co_ci_u32 s0, s35, s37
	s_and_b64 s[36:37], s[34:35], s[8:9]
	v_mul_u64_e32 v[14:15], s[0:1], v[12:13]
	v_mul_u64_e32 v[10:11], s[36:37], v[16:17]
	;; [unrolled: 1-line block ×3, first 2 shown]
	s_delay_alu instid0(VALU_DEP_3) | instskip(NEXT) | instid1(VALU_DEP_1)
	v_add_nc_u64_e32 v[14:15], v[20:21], v[14:15]
	v_add_co_u32 v5, vcc_lo, v14, v10
	s_delay_alu instid0(VALU_DEP_2) | instskip(NEXT) | instid1(VALU_DEP_4)
	v_add_co_ci_u32_e32 v20, vcc_lo, v15, v11, vcc_lo
	v_add_co_ci_u32_e32 v19, vcc_lo, 0, v19, vcc_lo
	s_delay_alu instid0(VALU_DEP_1) | instskip(NEXT) | instid1(VALU_DEP_1)
	v_add_nc_u64_e32 v[10:11], v[20:21], v[18:19]
	v_mul_u64_e32 v[14:15], s[28:29], v[10:11]
	s_delay_alu instid0(VALU_DEP_1) | instskip(NEXT) | instid1(VALU_DEP_2)
	v_sub_nc_u32_e32 v5, v16, v15
	v_sub_co_u32 v9, vcc_lo, v12, v14
	s_delay_alu instid0(VALU_DEP_1) | instskip(NEXT) | instid1(VALU_DEP_3)
	v_sub_co_ci_u32_e64 v16, null, v16, v15, vcc_lo
	v_subrev_co_ci_u32_e64 v5, null, s29, v5, vcc_lo
	s_delay_alu instid0(VALU_DEP_3) | instskip(SKIP_1) | instid1(VALU_DEP_3)
	v_sub_co_u32 v12, s0, v9, s28
	v_add_nc_u64_e32 v[14:15], 1, v[10:11]
	v_subrev_co_ci_u32_e64 v5, null, 0, v5, s0
	s_delay_alu instid0(VALU_DEP_3) | instskip(SKIP_1) | instid1(VALU_DEP_3)
	v_cmp_le_u32_e32 vcc_lo, s28, v12
	v_cndmask_b32_e64 v12, 0, -1, vcc_lo
	v_cmp_le_u32_e32 vcc_lo, s29, v5
	v_cndmask_b32_e64 v13, 0, -1, vcc_lo
	;; [unrolled: 2-line block ×4, first 2 shown]
	v_cmp_eq_u32_e32 vcc_lo, s29, v5
	v_cndmask_b32_e32 v5, v13, v12, vcc_lo
	v_cmp_eq_u32_e32 vcc_lo, s29, v16
	v_add_nc_u64_e32 v[12:13], 2, v[10:11]
	v_cndmask_b32_e32 v9, v17, v9, vcc_lo
	s_delay_alu instid0(VALU_DEP_4) | instskip(NEXT) | instid1(VALU_DEP_2)
	v_cmp_ne_u32_e32 vcc_lo, 0, v5
	v_cmp_ne_u32_e64 s0, 0, v9
	s_delay_alu instid0(VALU_DEP_4) | instskip(NEXT) | instid1(VALU_DEP_1)
	v_dual_cndmask_b32 v5, v15, v13, vcc_lo :: v_dual_cndmask_b32 v9, v14, v12, vcc_lo
	v_dual_cndmask_b32 v5, v11, v5, s0 :: v_dual_bitop2_b32 v8, s26, v8 bitop3:0x14
	s_delay_alu instid0(VALU_DEP_1) | instskip(NEXT) | instid1(VALU_DEP_2)
	v_dual_cndmask_b32 v10, v10, v9, s0 :: v_dual_mov_b32 v9, v8
	v_xor_b32_e32 v11, v5, v8
	s_delay_alu instid0(VALU_DEP_2) | instskip(NEXT) | instid1(VALU_DEP_1)
	v_xor_b32_e32 v10, v10, v8
	v_sub_nc_u64_e32 v[8:9], v[10:11], v[8:9]
	s_and_not1_saveexec_b32 s0, s30
	s_cbranch_execz .LBB0_6
.LBB0_8:                                ;   in Loop: Header=BB0_4 Depth=1
	v_cvt_f32_u32_e32 v5, s24
	s_sub_co_i32 s26, 0, s24
	s_delay_alu instid0(VALU_DEP_1) | instskip(SKIP_1) | instid1(TRANS32_DEP_1)
	v_rcp_iflag_f32_e32 v5, v5
	v_nop
	v_mul_f32_e32 v5, 0x4f7ffffe, v5
	s_delay_alu instid0(VALU_DEP_1) | instskip(NEXT) | instid1(VALU_DEP_1)
	v_cvt_u32_f32_e32 v5, v5
	v_mul_lo_u32 v8, s26, v5
	s_delay_alu instid0(VALU_DEP_1) | instskip(NEXT) | instid1(VALU_DEP_1)
	v_mul_hi_u32 v8, v5, v8
	v_add_nc_u32_e32 v5, v5, v8
	s_delay_alu instid0(VALU_DEP_1) | instskip(NEXT) | instid1(VALU_DEP_1)
	v_mul_hi_u32 v5, v6, v5
	v_mul_lo_u32 v8, v5, s24
	s_delay_alu instid0(VALU_DEP_1) | instskip(NEXT) | instid1(VALU_DEP_1)
	v_dual_add_nc_u32 v9, 1, v5 :: v_dual_sub_nc_u32 v8, v6, v8
	v_subrev_nc_u32_e32 v10, s24, v8
	v_cmp_le_u32_e32 vcc_lo, s24, v8
	s_delay_alu instid0(VALU_DEP_2) | instskip(NEXT) | instid1(VALU_DEP_1)
	v_dual_cndmask_b32 v8, v8, v10 :: v_dual_cndmask_b32 v5, v5, v9
	v_cmp_le_u32_e32 vcc_lo, s24, v8
	s_delay_alu instid0(VALU_DEP_2) | instskip(NEXT) | instid1(VALU_DEP_1)
	v_add_nc_u32_e32 v9, 1, v5
	v_dual_cndmask_b32 v8, v5, v9 :: v_dual_mov_b32 v9, v4
	s_or_b32 exec_lo, exec_lo, s0
	s_delay_alu instid0(VALU_DEP_1)
	v_mov_b64_e32 v[10:11], v[8:9]
	s_and_not1_b32 vcc_lo, exec_lo, s33
	s_cbranch_vccnz .LBB0_3
.LBB0_9:                                ;   in Loop: Header=BB0_4 Depth=1
	v_mov_b64_e32 v[10:11], v[8:9]
	s_add_nc_u64 s[26:27], s[18:19], s[22:23]
	s_mov_b64 s[28:29], s[10:11]
	s_mov_b64 s[30:31], s[12:13]
	s_branch .LBB0_11
.LBB0_10:                               ;   in Loop: Header=BB0_11 Depth=2
	s_add_nc_u64 s[30:31], s[30:31], -1
	s_add_nc_u64 s[28:29], s[28:29], 8
	s_cmp_eq_u64 s[30:31], 0
	s_cbranch_scc1 .LBB0_3
.LBB0_11:                               ;   Parent Loop BB0_4 Depth=1
                                        ; =>  This Inner Loop Header: Depth=2
	s_load_b64 s[34:35], s[28:29], 0x0
	s_wait_kmcnt 0x0
	s_cmp_lg_u64 s[20:21], s[34:35]
	s_cbranch_scc1 .LBB0_10
; %bb.12:                               ;   in Loop: Header=BB0_11 Depth=2
	s_load_b64 s[34:35], s[26:27], 0x0
	v_not_b32_e32 v11, v11
	v_not_b32_e32 v10, v10
	s_wait_kmcnt 0x0
	s_delay_alu instid0(VALU_DEP_1)
	v_add_nc_u64_e32 v[10:11], s[34:35], v[10:11]
	s_branch .LBB0_10
.LBB0_13:
	s_delay_alu instid0(VALU_DEP_1)
	v_lshl_add_u64 v[2:3], v[2:3], 2, s[4:5]
	v_lshl_add_u64 v[0:1], v[0:1], 2, s[6:7]
	global_load_b32 v2, v[2:3], off
	s_wait_loadcnt 0x0
	global_store_b32 v[0:1], v2, off
.LBB0_14:
	s_endpgm
	.section	.rodata,"a",@progbits
	.p2align	6, 0x0
	.amdhsa_kernel _Z11flip_kernelIfEvPKT_PS0_lPKllS5_S5_S5_l
		.amdhsa_group_segment_fixed_size 0
		.amdhsa_private_segment_fixed_size 0
		.amdhsa_kernarg_size 328
		.amdhsa_user_sgpr_count 2
		.amdhsa_user_sgpr_dispatch_ptr 0
		.amdhsa_user_sgpr_queue_ptr 0
		.amdhsa_user_sgpr_kernarg_segment_ptr 1
		.amdhsa_user_sgpr_dispatch_id 0
		.amdhsa_user_sgpr_kernarg_preload_length 0
		.amdhsa_user_sgpr_kernarg_preload_offset 0
		.amdhsa_user_sgpr_private_segment_size 0
		.amdhsa_wavefront_size32 1
		.amdhsa_uses_dynamic_stack 0
		.amdhsa_enable_private_segment 0
		.amdhsa_system_sgpr_workgroup_id_x 1
		.amdhsa_system_sgpr_workgroup_id_y 0
		.amdhsa_system_sgpr_workgroup_id_z 0
		.amdhsa_system_sgpr_workgroup_info 0
		.amdhsa_system_vgpr_workitem_id 0
		.amdhsa_next_free_vgpr 22
		.amdhsa_next_free_sgpr 43
		.amdhsa_named_barrier_count 0
		.amdhsa_reserve_vcc 1
		.amdhsa_float_round_mode_32 0
		.amdhsa_float_round_mode_16_64 0
		.amdhsa_float_denorm_mode_32 3
		.amdhsa_float_denorm_mode_16_64 3
		.amdhsa_fp16_overflow 0
		.amdhsa_memory_ordered 1
		.amdhsa_forward_progress 1
		.amdhsa_inst_pref_size 10
		.amdhsa_round_robin_scheduling 0
		.amdhsa_exception_fp_ieee_invalid_op 0
		.amdhsa_exception_fp_denorm_src 0
		.amdhsa_exception_fp_ieee_div_zero 0
		.amdhsa_exception_fp_ieee_overflow 0
		.amdhsa_exception_fp_ieee_underflow 0
		.amdhsa_exception_fp_ieee_inexact 0
		.amdhsa_exception_int_div_zero 0
	.end_amdhsa_kernel
	.section	.text._Z11flip_kernelIfEvPKT_PS0_lPKllS5_S5_S5_l,"axG",@progbits,_Z11flip_kernelIfEvPKT_PS0_lPKllS5_S5_S5_l,comdat
.Lfunc_end0:
	.size	_Z11flip_kernelIfEvPKT_PS0_lPKllS5_S5_S5_l, .Lfunc_end0-_Z11flip_kernelIfEvPKT_PS0_lPKllS5_S5_S5_l
                                        ; -- End function
	.set _Z11flip_kernelIfEvPKT_PS0_lPKllS5_S5_S5_l.num_vgpr, 22
	.set _Z11flip_kernelIfEvPKT_PS0_lPKllS5_S5_S5_l.num_agpr, 0
	.set _Z11flip_kernelIfEvPKT_PS0_lPKllS5_S5_S5_l.numbered_sgpr, 43
	.set _Z11flip_kernelIfEvPKT_PS0_lPKllS5_S5_S5_l.num_named_barrier, 0
	.set _Z11flip_kernelIfEvPKT_PS0_lPKllS5_S5_S5_l.private_seg_size, 0
	.set _Z11flip_kernelIfEvPKT_PS0_lPKllS5_S5_S5_l.uses_vcc, 1
	.set _Z11flip_kernelIfEvPKT_PS0_lPKllS5_S5_S5_l.uses_flat_scratch, 0
	.set _Z11flip_kernelIfEvPKT_PS0_lPKllS5_S5_S5_l.has_dyn_sized_stack, 0
	.set _Z11flip_kernelIfEvPKT_PS0_lPKllS5_S5_S5_l.has_recursion, 0
	.set _Z11flip_kernelIfEvPKT_PS0_lPKllS5_S5_S5_l.has_indirect_call, 0
	.section	.AMDGPU.csdata,"",@progbits
; Kernel info:
; codeLenInByte = 1172
; TotalNumSgprs: 45
; NumVgprs: 22
; ScratchSize: 0
; MemoryBound: 0
; FloatMode: 240
; IeeeMode: 1
; LDSByteSize: 0 bytes/workgroup (compile time only)
; SGPRBlocks: 0
; VGPRBlocks: 1
; NumSGPRsForWavesPerEU: 45
; NumVGPRsForWavesPerEU: 22
; NamedBarCnt: 0
; Occupancy: 16
; WaveLimiterHint : 0
; COMPUTE_PGM_RSRC2:SCRATCH_EN: 0
; COMPUTE_PGM_RSRC2:USER_SGPR: 2
; COMPUTE_PGM_RSRC2:TRAP_HANDLER: 0
; COMPUTE_PGM_RSRC2:TGID_X_EN: 1
; COMPUTE_PGM_RSRC2:TGID_Y_EN: 0
; COMPUTE_PGM_RSRC2:TGID_Z_EN: 0
; COMPUTE_PGM_RSRC2:TIDIG_COMP_CNT: 0
	.section	.text._Z11flip_kernelIdEvPKT_PS0_lPKllS5_S5_S5_l,"axG",@progbits,_Z11flip_kernelIdEvPKT_PS0_lPKllS5_S5_S5_l,comdat
	.protected	_Z11flip_kernelIdEvPKT_PS0_lPKllS5_S5_S5_l ; -- Begin function _Z11flip_kernelIdEvPKT_PS0_lPKllS5_S5_S5_l
	.globl	_Z11flip_kernelIdEvPKT_PS0_lPKllS5_S5_S5_l
	.p2align	8
	.type	_Z11flip_kernelIdEvPKT_PS0_lPKllS5_S5_S5_l,@function
_Z11flip_kernelIdEvPKT_PS0_lPKllS5_S5_S5_l: ; @_Z11flip_kernelIdEvPKT_PS0_lPKllS5_S5_S5_l
; %bb.0:
	s_load_b32 s2, s[0:1], 0x54
	s_bfe_u32 s20, ttmp6, 0x4000c
	s_load_b512 s[4:19], s[0:1], 0x0
	s_add_co_i32 s20, s20, 1
	s_and_b32 s3, ttmp6, 15
	s_mul_i32 s20, ttmp9, s20
	s_getreg_b32 s21, hwreg(HW_REG_IB_STS2, 6, 4)
	s_add_co_i32 s3, s3, s20
	v_mov_b32_e32 v1, 0
	s_wait_kmcnt 0x0
	s_and_b32 s2, s2, 0xffff
	s_cmp_eq_u32 s21, 0
	s_cselect_b32 s3, ttmp9, s3
	s_delay_alu instid0(SALU_CYCLE_1) | instskip(SKIP_1) | instid1(VALU_DEP_1)
	v_mad_u32 v0, s3, s2, v0
	s_mov_b32 s2, exec_lo
	v_cmpx_gt_i64_e64 s[8:9], v[0:1]
	s_cbranch_execz .LBB1_14
; %bb.1:
	s_load_b64 s[2:3], s[0:1], 0x40
	v_mov_b64_e32 v[2:3], 0
	s_wait_kmcnt 0x0
	v_cmp_lt_i64_e64 s0, s[2:3], 1
	s_and_b32 vcc_lo, exec_lo, s0
	s_cbranch_vccnz .LBB1_13
; %bb.2:
	v_cmp_gt_i64_e64 s33, s[12:13], 0
	v_mov_b64_e32 v[6:7], v[0:1]
	v_mov_b32_e32 v4, 0
	s_mov_b64 s[8:9], 0xffffffff
	s_mov_b64 s[20:21], 0
	s_mov_b32 s1, 0
	s_branch .LBB1_4
.LBB1_3:                                ;   in Loop: Header=BB1_4 Depth=1
	s_add_nc_u64 s[22:23], s[14:15], s[22:23]
	v_mul_u64_e32 v[8:9], s[24:25], v[8:9]
	s_load_b64 s[22:23], s[22:23], 0x0
	s_add_nc_u64 s[20:21], s[20:21], 1
	s_delay_alu instid0(SALU_CYCLE_1) | instskip(SKIP_2) | instid1(VALU_DEP_2)
	s_cmp_eq_u64 s[20:21], s[2:3]
	s_wait_kmcnt 0x0
	v_mad_nc_u64_u32 v[2:3], s22, v10, v[2:3]
	v_sub_nc_u64_e32 v[6:7], v[6:7], v[8:9]
	s_delay_alu instid0(VALU_DEP_2) | instskip(NEXT) | instid1(VALU_DEP_1)
	v_mad_u32 v3, s23, v10, v3
	v_mad_u32 v3, s22, v11, v3
	s_cbranch_scc1 .LBB1_13
.LBB1_4:                                ; =>This Loop Header: Depth=1
                                        ;     Child Loop BB1_11 Depth 2
	s_lshl_b64 s[22:23], s[20:21], 3
                                        ; implicit-def: $vgpr8_vgpr9
	s_mov_b32 s0, exec_lo
	s_add_nc_u64 s[24:25], s[16:17], s[22:23]
	s_load_b64 s[24:25], s[24:25], 0x0
	s_wait_kmcnt 0x0
	v_or_b32_e32 v5, s25, v7
	s_delay_alu instid0(VALU_DEP_1)
	v_cmpx_ne_u64_e32 0, v[4:5]
	s_xor_b32 s30, exec_lo, s0
	s_cbranch_execnz .LBB1_7
; %bb.5:                                ;   in Loop: Header=BB1_4 Depth=1
	s_and_not1_saveexec_b32 s0, s30
	s_cbranch_execnz .LBB1_8
.LBB1_6:                                ;   in Loop: Header=BB1_4 Depth=1
	s_or_b32 exec_lo, exec_lo, s0
	s_delay_alu instid0(VALU_DEP_1)
	v_mov_b64_e32 v[10:11], v[8:9]
	s_and_not1_b32 vcc_lo, exec_lo, s33
	s_cbranch_vccz .LBB1_9
	s_branch .LBB1_3
.LBB1_7:                                ;   in Loop: Header=BB1_4 Depth=1
	s_ashr_i32 s26, s25, 31
	v_dual_mov_b32 v13, v4 :: v_dual_ashrrev_i32 v8, 31, v7
	s_mov_b32 s27, s26
	v_mov_b32_e32 v21, v4
	s_add_nc_u64 s[28:29], s[24:25], s[26:27]
	s_delay_alu instid0(VALU_DEP_2) | instskip(SKIP_1) | instid1(SALU_CYCLE_1)
	v_mov_b32_e32 v9, v8
	s_xor_b64 s[28:29], s[28:29], s[26:27]
	s_cvt_f32_u32 s0, s28
	s_cvt_f32_u32 s27, s29
	s_sub_nc_u64 s[36:37], 0, s[28:29]
	v_add_nc_u64_e32 v[10:11], v[6:7], v[8:9]
	v_mov_b32_e32 v17, v4
	s_fmamk_f32 s0, s27, 0x4f800000, s0
	s_delay_alu instid0(SALU_CYCLE_3) | instskip(NEXT) | instid1(VALU_DEP_2)
	v_s_rcp_f32 s0, s0
	v_xor_b32_e32 v12, v10, v8
	s_delay_alu instid0(VALU_DEP_3) | instskip(NEXT) | instid1(TRANS32_DEP_1)
	v_xor_b32_e32 v16, v11, v8
	s_mul_f32 s0, s0, 0x5f7ffffc
	s_delay_alu instid0(SALU_CYCLE_3) | instskip(NEXT) | instid1(SALU_CYCLE_3)
	s_mul_f32 s27, s0, 0x2f800000
	s_trunc_f32 s27, s27
	s_delay_alu instid0(SALU_CYCLE_3) | instskip(SKIP_1) | instid1(SALU_CYCLE_2)
	s_fmamk_f32 s0, s27, 0xcf800000, s0
	s_cvt_u32_f32 s35, s27
	s_cvt_u32_f32 s34, s0
	s_delay_alu instid0(SALU_CYCLE_3) | instskip(NEXT) | instid1(SALU_CYCLE_1)
	s_mul_u64 s[38:39], s[36:37], s[34:35]
	s_mul_hi_u32 s41, s34, s39
	s_mul_i32 s40, s34, s39
	s_mul_hi_u32 s0, s34, s38
	s_mul_i32 s31, s35, s38
	s_add_nc_u64 s[40:41], s[0:1], s[40:41]
	s_mul_hi_u32 s27, s35, s38
	s_mul_hi_u32 s42, s35, s39
	s_add_co_u32 s0, s40, s31
	s_add_co_ci_u32 s0, s41, s27
	s_mul_i32 s38, s35, s39
	s_add_co_ci_u32 s39, s42, 0
	s_delay_alu instid0(SALU_CYCLE_1) | instskip(NEXT) | instid1(SALU_CYCLE_1)
	s_add_nc_u64 s[38:39], s[0:1], s[38:39]
	s_add_co_u32 s34, s34, s38
	s_cselect_b32 s0, -1, 0
	s_delay_alu instid0(SALU_CYCLE_1) | instskip(SKIP_1) | instid1(SALU_CYCLE_1)
	s_cmp_lg_u32 s0, 0
	s_add_co_ci_u32 s35, s35, s39
	s_mul_u64 s[36:37], s[36:37], s[34:35]
	s_delay_alu instid0(SALU_CYCLE_1)
	s_mul_hi_u32 s39, s34, s37
	s_mul_i32 s38, s34, s37
	s_mul_hi_u32 s0, s34, s36
	s_mul_i32 s31, s35, s36
	s_add_nc_u64 s[38:39], s[0:1], s[38:39]
	s_mul_hi_u32 s27, s35, s36
	s_mul_hi_u32 s40, s35, s37
	s_add_co_u32 s0, s38, s31
	s_add_co_ci_u32 s0, s39, s27
	s_mul_i32 s36, s35, s37
	s_add_co_ci_u32 s37, s40, 0
	s_delay_alu instid0(SALU_CYCLE_1) | instskip(NEXT) | instid1(SALU_CYCLE_1)
	s_add_nc_u64 s[36:37], s[0:1], s[36:37]
	s_add_co_u32 s34, s34, s36
	s_cselect_b32 s0, -1, 0
	v_mul_hi_u32 v20, v12, s34
	s_cmp_lg_u32 s0, 0
	s_add_co_ci_u32 s0, s35, s37
	s_and_b64 s[36:37], s[34:35], s[8:9]
	v_mul_u64_e32 v[14:15], s[0:1], v[12:13]
	v_mul_u64_e32 v[10:11], s[36:37], v[16:17]
	;; [unrolled: 1-line block ×3, first 2 shown]
	s_delay_alu instid0(VALU_DEP_3) | instskip(NEXT) | instid1(VALU_DEP_1)
	v_add_nc_u64_e32 v[14:15], v[20:21], v[14:15]
	v_add_co_u32 v5, vcc_lo, v14, v10
	s_delay_alu instid0(VALU_DEP_2) | instskip(NEXT) | instid1(VALU_DEP_4)
	v_add_co_ci_u32_e32 v20, vcc_lo, v15, v11, vcc_lo
	v_add_co_ci_u32_e32 v19, vcc_lo, 0, v19, vcc_lo
	s_delay_alu instid0(VALU_DEP_1) | instskip(NEXT) | instid1(VALU_DEP_1)
	v_add_nc_u64_e32 v[10:11], v[20:21], v[18:19]
	v_mul_u64_e32 v[14:15], s[28:29], v[10:11]
	s_delay_alu instid0(VALU_DEP_1) | instskip(NEXT) | instid1(VALU_DEP_2)
	v_sub_nc_u32_e32 v5, v16, v15
	v_sub_co_u32 v9, vcc_lo, v12, v14
	s_delay_alu instid0(VALU_DEP_1) | instskip(NEXT) | instid1(VALU_DEP_3)
	v_sub_co_ci_u32_e64 v16, null, v16, v15, vcc_lo
	v_subrev_co_ci_u32_e64 v5, null, s29, v5, vcc_lo
	s_delay_alu instid0(VALU_DEP_3) | instskip(SKIP_1) | instid1(VALU_DEP_3)
	v_sub_co_u32 v12, s0, v9, s28
	v_add_nc_u64_e32 v[14:15], 1, v[10:11]
	v_subrev_co_ci_u32_e64 v5, null, 0, v5, s0
	s_delay_alu instid0(VALU_DEP_3) | instskip(SKIP_1) | instid1(VALU_DEP_3)
	v_cmp_le_u32_e32 vcc_lo, s28, v12
	v_cndmask_b32_e64 v12, 0, -1, vcc_lo
	v_cmp_le_u32_e32 vcc_lo, s29, v5
	v_cndmask_b32_e64 v13, 0, -1, vcc_lo
	;; [unrolled: 2-line block ×4, first 2 shown]
	v_cmp_eq_u32_e32 vcc_lo, s29, v5
	v_cndmask_b32_e32 v5, v13, v12, vcc_lo
	v_cmp_eq_u32_e32 vcc_lo, s29, v16
	v_add_nc_u64_e32 v[12:13], 2, v[10:11]
	v_cndmask_b32_e32 v9, v17, v9, vcc_lo
	s_delay_alu instid0(VALU_DEP_4) | instskip(NEXT) | instid1(VALU_DEP_2)
	v_cmp_ne_u32_e32 vcc_lo, 0, v5
	v_cmp_ne_u32_e64 s0, 0, v9
	s_delay_alu instid0(VALU_DEP_4) | instskip(NEXT) | instid1(VALU_DEP_1)
	v_dual_cndmask_b32 v5, v15, v13, vcc_lo :: v_dual_cndmask_b32 v9, v14, v12, vcc_lo
	v_dual_cndmask_b32 v5, v11, v5, s0 :: v_dual_bitop2_b32 v8, s26, v8 bitop3:0x14
	s_delay_alu instid0(VALU_DEP_1) | instskip(NEXT) | instid1(VALU_DEP_2)
	v_dual_cndmask_b32 v10, v10, v9, s0 :: v_dual_mov_b32 v9, v8
	v_xor_b32_e32 v11, v5, v8
	s_delay_alu instid0(VALU_DEP_2) | instskip(NEXT) | instid1(VALU_DEP_1)
	v_xor_b32_e32 v10, v10, v8
	v_sub_nc_u64_e32 v[8:9], v[10:11], v[8:9]
	s_and_not1_saveexec_b32 s0, s30
	s_cbranch_execz .LBB1_6
.LBB1_8:                                ;   in Loop: Header=BB1_4 Depth=1
	v_cvt_f32_u32_e32 v5, s24
	s_sub_co_i32 s26, 0, s24
	s_delay_alu instid0(VALU_DEP_1) | instskip(SKIP_1) | instid1(TRANS32_DEP_1)
	v_rcp_iflag_f32_e32 v5, v5
	v_nop
	v_mul_f32_e32 v5, 0x4f7ffffe, v5
	s_delay_alu instid0(VALU_DEP_1) | instskip(NEXT) | instid1(VALU_DEP_1)
	v_cvt_u32_f32_e32 v5, v5
	v_mul_lo_u32 v8, s26, v5
	s_delay_alu instid0(VALU_DEP_1) | instskip(NEXT) | instid1(VALU_DEP_1)
	v_mul_hi_u32 v8, v5, v8
	v_add_nc_u32_e32 v5, v5, v8
	s_delay_alu instid0(VALU_DEP_1) | instskip(NEXT) | instid1(VALU_DEP_1)
	v_mul_hi_u32 v5, v6, v5
	v_mul_lo_u32 v8, v5, s24
	s_delay_alu instid0(VALU_DEP_1) | instskip(NEXT) | instid1(VALU_DEP_1)
	v_dual_add_nc_u32 v9, 1, v5 :: v_dual_sub_nc_u32 v8, v6, v8
	v_subrev_nc_u32_e32 v10, s24, v8
	v_cmp_le_u32_e32 vcc_lo, s24, v8
	s_delay_alu instid0(VALU_DEP_2) | instskip(NEXT) | instid1(VALU_DEP_1)
	v_dual_cndmask_b32 v8, v8, v10 :: v_dual_cndmask_b32 v5, v5, v9
	v_cmp_le_u32_e32 vcc_lo, s24, v8
	s_delay_alu instid0(VALU_DEP_2) | instskip(NEXT) | instid1(VALU_DEP_1)
	v_add_nc_u32_e32 v9, 1, v5
	v_dual_cndmask_b32 v8, v5, v9 :: v_dual_mov_b32 v9, v4
	s_or_b32 exec_lo, exec_lo, s0
	s_delay_alu instid0(VALU_DEP_1)
	v_mov_b64_e32 v[10:11], v[8:9]
	s_and_not1_b32 vcc_lo, exec_lo, s33
	s_cbranch_vccnz .LBB1_3
.LBB1_9:                                ;   in Loop: Header=BB1_4 Depth=1
	v_mov_b64_e32 v[10:11], v[8:9]
	s_add_nc_u64 s[26:27], s[18:19], s[22:23]
	s_mov_b64 s[28:29], s[10:11]
	s_mov_b64 s[30:31], s[12:13]
	s_branch .LBB1_11
.LBB1_10:                               ;   in Loop: Header=BB1_11 Depth=2
	s_add_nc_u64 s[30:31], s[30:31], -1
	s_add_nc_u64 s[28:29], s[28:29], 8
	s_cmp_eq_u64 s[30:31], 0
	s_cbranch_scc1 .LBB1_3
.LBB1_11:                               ;   Parent Loop BB1_4 Depth=1
                                        ; =>  This Inner Loop Header: Depth=2
	s_load_b64 s[34:35], s[28:29], 0x0
	s_wait_kmcnt 0x0
	s_cmp_lg_u64 s[20:21], s[34:35]
	s_cbranch_scc1 .LBB1_10
; %bb.12:                               ;   in Loop: Header=BB1_11 Depth=2
	s_load_b64 s[34:35], s[26:27], 0x0
	v_not_b32_e32 v11, v11
	v_not_b32_e32 v10, v10
	s_wait_kmcnt 0x0
	s_delay_alu instid0(VALU_DEP_1)
	v_add_nc_u64_e32 v[10:11], s[34:35], v[10:11]
	s_branch .LBB1_10
.LBB1_13:
	s_delay_alu instid0(VALU_DEP_1)
	v_lshl_add_u64 v[2:3], v[2:3], 3, s[4:5]
	v_lshl_add_u64 v[0:1], v[0:1], 3, s[6:7]
	global_load_b64 v[2:3], v[2:3], off
	s_wait_loadcnt 0x0
	global_store_b64 v[0:1], v[2:3], off
.LBB1_14:
	s_endpgm
	.section	.rodata,"a",@progbits
	.p2align	6, 0x0
	.amdhsa_kernel _Z11flip_kernelIdEvPKT_PS0_lPKllS5_S5_S5_l
		.amdhsa_group_segment_fixed_size 0
		.amdhsa_private_segment_fixed_size 0
		.amdhsa_kernarg_size 328
		.amdhsa_user_sgpr_count 2
		.amdhsa_user_sgpr_dispatch_ptr 0
		.amdhsa_user_sgpr_queue_ptr 0
		.amdhsa_user_sgpr_kernarg_segment_ptr 1
		.amdhsa_user_sgpr_dispatch_id 0
		.amdhsa_user_sgpr_kernarg_preload_length 0
		.amdhsa_user_sgpr_kernarg_preload_offset 0
		.amdhsa_user_sgpr_private_segment_size 0
		.amdhsa_wavefront_size32 1
		.amdhsa_uses_dynamic_stack 0
		.amdhsa_enable_private_segment 0
		.amdhsa_system_sgpr_workgroup_id_x 1
		.amdhsa_system_sgpr_workgroup_id_y 0
		.amdhsa_system_sgpr_workgroup_id_z 0
		.amdhsa_system_sgpr_workgroup_info 0
		.amdhsa_system_vgpr_workitem_id 0
		.amdhsa_next_free_vgpr 22
		.amdhsa_next_free_sgpr 43
		.amdhsa_named_barrier_count 0
		.amdhsa_reserve_vcc 1
		.amdhsa_float_round_mode_32 0
		.amdhsa_float_round_mode_16_64 0
		.amdhsa_float_denorm_mode_32 3
		.amdhsa_float_denorm_mode_16_64 3
		.amdhsa_fp16_overflow 0
		.amdhsa_memory_ordered 1
		.amdhsa_forward_progress 1
		.amdhsa_inst_pref_size 10
		.amdhsa_round_robin_scheduling 0
		.amdhsa_exception_fp_ieee_invalid_op 0
		.amdhsa_exception_fp_denorm_src 0
		.amdhsa_exception_fp_ieee_div_zero 0
		.amdhsa_exception_fp_ieee_overflow 0
		.amdhsa_exception_fp_ieee_underflow 0
		.amdhsa_exception_fp_ieee_inexact 0
		.amdhsa_exception_int_div_zero 0
	.end_amdhsa_kernel
	.section	.text._Z11flip_kernelIdEvPKT_PS0_lPKllS5_S5_S5_l,"axG",@progbits,_Z11flip_kernelIdEvPKT_PS0_lPKllS5_S5_S5_l,comdat
.Lfunc_end1:
	.size	_Z11flip_kernelIdEvPKT_PS0_lPKllS5_S5_S5_l, .Lfunc_end1-_Z11flip_kernelIdEvPKT_PS0_lPKllS5_S5_S5_l
                                        ; -- End function
	.set _Z11flip_kernelIdEvPKT_PS0_lPKllS5_S5_S5_l.num_vgpr, 22
	.set _Z11flip_kernelIdEvPKT_PS0_lPKllS5_S5_S5_l.num_agpr, 0
	.set _Z11flip_kernelIdEvPKT_PS0_lPKllS5_S5_S5_l.numbered_sgpr, 43
	.set _Z11flip_kernelIdEvPKT_PS0_lPKllS5_S5_S5_l.num_named_barrier, 0
	.set _Z11flip_kernelIdEvPKT_PS0_lPKllS5_S5_S5_l.private_seg_size, 0
	.set _Z11flip_kernelIdEvPKT_PS0_lPKllS5_S5_S5_l.uses_vcc, 1
	.set _Z11flip_kernelIdEvPKT_PS0_lPKllS5_S5_S5_l.uses_flat_scratch, 0
	.set _Z11flip_kernelIdEvPKT_PS0_lPKllS5_S5_S5_l.has_dyn_sized_stack, 0
	.set _Z11flip_kernelIdEvPKT_PS0_lPKllS5_S5_S5_l.has_recursion, 0
	.set _Z11flip_kernelIdEvPKT_PS0_lPKllS5_S5_S5_l.has_indirect_call, 0
	.section	.AMDGPU.csdata,"",@progbits
; Kernel info:
; codeLenInByte = 1172
; TotalNumSgprs: 45
; NumVgprs: 22
; ScratchSize: 0
; MemoryBound: 0
; FloatMode: 240
; IeeeMode: 1
; LDSByteSize: 0 bytes/workgroup (compile time only)
; SGPRBlocks: 0
; VGPRBlocks: 1
; NumSGPRsForWavesPerEU: 45
; NumVGPRsForWavesPerEU: 22
; NamedBarCnt: 0
; Occupancy: 16
; WaveLimiterHint : 0
; COMPUTE_PGM_RSRC2:SCRATCH_EN: 0
; COMPUTE_PGM_RSRC2:USER_SGPR: 2
; COMPUTE_PGM_RSRC2:TRAP_HANDLER: 0
; COMPUTE_PGM_RSRC2:TGID_X_EN: 1
; COMPUTE_PGM_RSRC2:TGID_Y_EN: 0
; COMPUTE_PGM_RSRC2:TGID_Z_EN: 0
; COMPUTE_PGM_RSRC2:TIDIG_COMP_CNT: 0
	.section	.AMDGPU.gpr_maximums,"",@progbits
	.set amdgpu.max_num_vgpr, 0
	.set amdgpu.max_num_agpr, 0
	.set amdgpu.max_num_sgpr, 0
	.section	.AMDGPU.csdata,"",@progbits
	.type	__hip_cuid_9466fc7f40f537e4,@object ; @__hip_cuid_9466fc7f40f537e4
	.section	.bss,"aw",@nobits
	.globl	__hip_cuid_9466fc7f40f537e4
__hip_cuid_9466fc7f40f537e4:
	.byte	0                               ; 0x0
	.size	__hip_cuid_9466fc7f40f537e4, 1

	.ident	"AMD clang version 22.0.0git (https://github.com/RadeonOpenCompute/llvm-project roc-7.2.4 26084 f58b06dce1f9c15707c5f808fd002e18c2accf7e)"
	.section	".note.GNU-stack","",@progbits
	.addrsig
	.addrsig_sym __hip_cuid_9466fc7f40f537e4
	.amdgpu_metadata
---
amdhsa.kernels:
  - .args:
      - .address_space:  global
        .offset:         0
        .size:           8
        .value_kind:     global_buffer
      - .address_space:  global
        .offset:         8
        .size:           8
        .value_kind:     global_buffer
      - .offset:         16
        .size:           8
        .value_kind:     by_value
      - .address_space:  global
        .offset:         24
        .size:           8
        .value_kind:     global_buffer
      - .offset:         32
        .size:           8
        .value_kind:     by_value
      - .address_space:  global
        .offset:         40
        .size:           8
        .value_kind:     global_buffer
      - .address_space:  global
        .offset:         48
        .size:           8
        .value_kind:     global_buffer
      - .address_space:  global
        .offset:         56
        .size:           8
        .value_kind:     global_buffer
      - .offset:         64
        .size:           8
        .value_kind:     by_value
      - .offset:         72
        .size:           4
        .value_kind:     hidden_block_count_x
      - .offset:         76
        .size:           4
        .value_kind:     hidden_block_count_y
      - .offset:         80
        .size:           4
        .value_kind:     hidden_block_count_z
      - .offset:         84
        .size:           2
        .value_kind:     hidden_group_size_x
      - .offset:         86
        .size:           2
        .value_kind:     hidden_group_size_y
      - .offset:         88
        .size:           2
        .value_kind:     hidden_group_size_z
      - .offset:         90
        .size:           2
        .value_kind:     hidden_remainder_x
      - .offset:         92
        .size:           2
        .value_kind:     hidden_remainder_y
      - .offset:         94
        .size:           2
        .value_kind:     hidden_remainder_z
      - .offset:         112
        .size:           8
        .value_kind:     hidden_global_offset_x
      - .offset:         120
        .size:           8
        .value_kind:     hidden_global_offset_y
      - .offset:         128
        .size:           8
        .value_kind:     hidden_global_offset_z
      - .offset:         136
        .size:           2
        .value_kind:     hidden_grid_dims
    .group_segment_fixed_size: 0
    .kernarg_segment_align: 8
    .kernarg_segment_size: 328
    .language:       OpenCL C
    .language_version:
      - 2
      - 0
    .max_flat_workgroup_size: 1024
    .name:           _Z11flip_kernelIfEvPKT_PS0_lPKllS5_S5_S5_l
    .private_segment_fixed_size: 0
    .sgpr_count:     45
    .sgpr_spill_count: 0
    .symbol:         _Z11flip_kernelIfEvPKT_PS0_lPKllS5_S5_S5_l.kd
    .uniform_work_group_size: 1
    .uses_dynamic_stack: false
    .vgpr_count:     22
    .vgpr_spill_count: 0
    .wavefront_size: 32
  - .args:
      - .address_space:  global
        .offset:         0
        .size:           8
        .value_kind:     global_buffer
      - .address_space:  global
        .offset:         8
        .size:           8
        .value_kind:     global_buffer
      - .offset:         16
        .size:           8
        .value_kind:     by_value
      - .address_space:  global
        .offset:         24
        .size:           8
        .value_kind:     global_buffer
      - .offset:         32
        .size:           8
        .value_kind:     by_value
      - .address_space:  global
        .offset:         40
        .size:           8
        .value_kind:     global_buffer
      - .address_space:  global
        .offset:         48
        .size:           8
        .value_kind:     global_buffer
      - .address_space:  global
        .offset:         56
        .size:           8
        .value_kind:     global_buffer
      - .offset:         64
        .size:           8
        .value_kind:     by_value
      - .offset:         72
        .size:           4
        .value_kind:     hidden_block_count_x
      - .offset:         76
        .size:           4
        .value_kind:     hidden_block_count_y
      - .offset:         80
        .size:           4
        .value_kind:     hidden_block_count_z
      - .offset:         84
        .size:           2
        .value_kind:     hidden_group_size_x
      - .offset:         86
        .size:           2
        .value_kind:     hidden_group_size_y
      - .offset:         88
        .size:           2
        .value_kind:     hidden_group_size_z
      - .offset:         90
        .size:           2
        .value_kind:     hidden_remainder_x
      - .offset:         92
        .size:           2
        .value_kind:     hidden_remainder_y
      - .offset:         94
        .size:           2
        .value_kind:     hidden_remainder_z
      - .offset:         112
        .size:           8
        .value_kind:     hidden_global_offset_x
      - .offset:         120
        .size:           8
        .value_kind:     hidden_global_offset_y
      - .offset:         128
        .size:           8
        .value_kind:     hidden_global_offset_z
      - .offset:         136
        .size:           2
        .value_kind:     hidden_grid_dims
    .group_segment_fixed_size: 0
    .kernarg_segment_align: 8
    .kernarg_segment_size: 328
    .language:       OpenCL C
    .language_version:
      - 2
      - 0
    .max_flat_workgroup_size: 1024
    .name:           _Z11flip_kernelIdEvPKT_PS0_lPKllS5_S5_S5_l
    .private_segment_fixed_size: 0
    .sgpr_count:     45
    .sgpr_spill_count: 0
    .symbol:         _Z11flip_kernelIdEvPKT_PS0_lPKllS5_S5_S5_l.kd
    .uniform_work_group_size: 1
    .uses_dynamic_stack: false
    .vgpr_count:     22
    .vgpr_spill_count: 0
    .wavefront_size: 32
amdhsa.target:   amdgcn-amd-amdhsa--gfx1250
amdhsa.version:
  - 1
  - 2
...

	.end_amdgpu_metadata
